;; amdgpu-corpus repo=ROCm/rocFFT kind=compiled arch=gfx906 opt=O3
	.text
	.amdgcn_target "amdgcn-amd-amdhsa--gfx906"
	.amdhsa_code_object_version 6
	.protected	fft_rtc_back_len612_factors_17_3_6_2_wgs_51_tpt_51_halfLds_sp_ip_CI_unitstride_sbrr_C2R_dirReg ; -- Begin function fft_rtc_back_len612_factors_17_3_6_2_wgs_51_tpt_51_halfLds_sp_ip_CI_unitstride_sbrr_C2R_dirReg
	.globl	fft_rtc_back_len612_factors_17_3_6_2_wgs_51_tpt_51_halfLds_sp_ip_CI_unitstride_sbrr_C2R_dirReg
	.p2align	8
	.type	fft_rtc_back_len612_factors_17_3_6_2_wgs_51_tpt_51_halfLds_sp_ip_CI_unitstride_sbrr_C2R_dirReg,@function
fft_rtc_back_len612_factors_17_3_6_2_wgs_51_tpt_51_halfLds_sp_ip_CI_unitstride_sbrr_C2R_dirReg: ; @fft_rtc_back_len612_factors_17_3_6_2_wgs_51_tpt_51_halfLds_sp_ip_CI_unitstride_sbrr_C2R_dirReg
; %bb.0:
	s_load_dwordx2 s[2:3], s[4:5], 0x50
	s_load_dwordx4 s[8:11], s[4:5], 0x0
	s_load_dwordx2 s[12:13], s[4:5], 0x18
	v_mul_u32_u24_e32 v1, 0x506, v0
	v_add_u32_sdwa v5, s6, v1 dst_sel:DWORD dst_unused:UNUSED_PAD src0_sel:DWORD src1_sel:WORD_1
	v_mov_b32_e32 v3, 0
	s_waitcnt lgkmcnt(0)
	v_cmp_lt_u64_e64 s[0:1], s[10:11], 2
	v_mov_b32_e32 v1, 0
	v_mov_b32_e32 v6, v3
	s_and_b64 vcc, exec, s[0:1]
	v_mov_b32_e32 v2, 0
	s_cbranch_vccnz .LBB0_8
; %bb.1:
	s_load_dwordx2 s[0:1], s[4:5], 0x10
	s_add_u32 s6, s12, 8
	s_addc_u32 s7, s13, 0
	v_mov_b32_e32 v1, 0
	v_mov_b32_e32 v2, 0
	s_waitcnt lgkmcnt(0)
	s_add_u32 s14, s0, 8
	s_addc_u32 s15, s1, 0
	s_mov_b64 s[16:17], 1
.LBB0_2:                                ; =>This Inner Loop Header: Depth=1
	s_load_dwordx2 s[18:19], s[14:15], 0x0
                                        ; implicit-def: $vgpr7_vgpr8
	s_waitcnt lgkmcnt(0)
	v_or_b32_e32 v4, s19, v6
	v_cmp_ne_u64_e32 vcc, 0, v[3:4]
	s_and_saveexec_b64 s[0:1], vcc
	s_xor_b64 s[20:21], exec, s[0:1]
	s_cbranch_execz .LBB0_4
; %bb.3:                                ;   in Loop: Header=BB0_2 Depth=1
	v_cvt_f32_u32_e32 v4, s18
	v_cvt_f32_u32_e32 v7, s19
	s_sub_u32 s0, 0, s18
	s_subb_u32 s1, 0, s19
	v_mac_f32_e32 v4, 0x4f800000, v7
	v_rcp_f32_e32 v4, v4
	v_mul_f32_e32 v4, 0x5f7ffffc, v4
	v_mul_f32_e32 v7, 0x2f800000, v4
	v_trunc_f32_e32 v7, v7
	v_mac_f32_e32 v4, 0xcf800000, v7
	v_cvt_u32_f32_e32 v7, v7
	v_cvt_u32_f32_e32 v4, v4
	v_mul_lo_u32 v8, s0, v7
	v_mul_hi_u32 v9, s0, v4
	v_mul_lo_u32 v11, s1, v4
	v_mul_lo_u32 v10, s0, v4
	v_add_u32_e32 v8, v9, v8
	v_add_u32_e32 v8, v8, v11
	v_mul_hi_u32 v9, v4, v10
	v_mul_lo_u32 v11, v4, v8
	v_mul_hi_u32 v13, v4, v8
	v_mul_hi_u32 v12, v7, v10
	v_mul_lo_u32 v10, v7, v10
	v_mul_hi_u32 v14, v7, v8
	v_add_co_u32_e32 v9, vcc, v9, v11
	v_addc_co_u32_e32 v11, vcc, 0, v13, vcc
	v_mul_lo_u32 v8, v7, v8
	v_add_co_u32_e32 v9, vcc, v9, v10
	v_addc_co_u32_e32 v9, vcc, v11, v12, vcc
	v_addc_co_u32_e32 v10, vcc, 0, v14, vcc
	v_add_co_u32_e32 v8, vcc, v9, v8
	v_addc_co_u32_e32 v9, vcc, 0, v10, vcc
	v_add_co_u32_e32 v4, vcc, v4, v8
	v_addc_co_u32_e32 v7, vcc, v7, v9, vcc
	v_mul_lo_u32 v8, s0, v7
	v_mul_hi_u32 v9, s0, v4
	v_mul_lo_u32 v10, s1, v4
	v_mul_lo_u32 v11, s0, v4
	v_add_u32_e32 v8, v9, v8
	v_add_u32_e32 v8, v8, v10
	v_mul_lo_u32 v12, v4, v8
	v_mul_hi_u32 v13, v4, v11
	v_mul_hi_u32 v14, v4, v8
	;; [unrolled: 1-line block ×3, first 2 shown]
	v_mul_lo_u32 v11, v7, v11
	v_mul_hi_u32 v9, v7, v8
	v_add_co_u32_e32 v12, vcc, v13, v12
	v_addc_co_u32_e32 v13, vcc, 0, v14, vcc
	v_mul_lo_u32 v8, v7, v8
	v_add_co_u32_e32 v11, vcc, v12, v11
	v_addc_co_u32_e32 v10, vcc, v13, v10, vcc
	v_addc_co_u32_e32 v9, vcc, 0, v9, vcc
	v_add_co_u32_e32 v8, vcc, v10, v8
	v_addc_co_u32_e32 v9, vcc, 0, v9, vcc
	v_add_co_u32_e32 v4, vcc, v4, v8
	v_addc_co_u32_e32 v9, vcc, v7, v9, vcc
	v_mad_u64_u32 v[7:8], s[0:1], v5, v9, 0
	v_mul_hi_u32 v10, v5, v4
	v_add_co_u32_e32 v11, vcc, v10, v7
	v_addc_co_u32_e32 v12, vcc, 0, v8, vcc
	v_mad_u64_u32 v[7:8], s[0:1], v6, v4, 0
	v_mad_u64_u32 v[9:10], s[0:1], v6, v9, 0
	v_add_co_u32_e32 v4, vcc, v11, v7
	v_addc_co_u32_e32 v4, vcc, v12, v8, vcc
	v_addc_co_u32_e32 v7, vcc, 0, v10, vcc
	v_add_co_u32_e32 v4, vcc, v4, v9
	v_addc_co_u32_e32 v9, vcc, 0, v7, vcc
	v_mul_lo_u32 v10, s19, v4
	v_mul_lo_u32 v11, s18, v9
	v_mad_u64_u32 v[7:8], s[0:1], s18, v4, 0
	v_add3_u32 v8, v8, v11, v10
	v_sub_u32_e32 v10, v6, v8
	v_mov_b32_e32 v11, s19
	v_sub_co_u32_e32 v7, vcc, v5, v7
	v_subb_co_u32_e64 v10, s[0:1], v10, v11, vcc
	v_subrev_co_u32_e64 v11, s[0:1], s18, v7
	v_subbrev_co_u32_e64 v10, s[0:1], 0, v10, s[0:1]
	v_cmp_le_u32_e64 s[0:1], s19, v10
	v_cndmask_b32_e64 v12, 0, -1, s[0:1]
	v_cmp_le_u32_e64 s[0:1], s18, v11
	v_cndmask_b32_e64 v11, 0, -1, s[0:1]
	v_cmp_eq_u32_e64 s[0:1], s19, v10
	v_cndmask_b32_e64 v10, v12, v11, s[0:1]
	v_add_co_u32_e64 v11, s[0:1], 2, v4
	v_addc_co_u32_e64 v12, s[0:1], 0, v9, s[0:1]
	v_add_co_u32_e64 v13, s[0:1], 1, v4
	v_addc_co_u32_e64 v14, s[0:1], 0, v9, s[0:1]
	v_subb_co_u32_e32 v8, vcc, v6, v8, vcc
	v_cmp_ne_u32_e64 s[0:1], 0, v10
	v_cmp_le_u32_e32 vcc, s19, v8
	v_cndmask_b32_e64 v10, v14, v12, s[0:1]
	v_cndmask_b32_e64 v12, 0, -1, vcc
	v_cmp_le_u32_e32 vcc, s18, v7
	v_cndmask_b32_e64 v7, 0, -1, vcc
	v_cmp_eq_u32_e32 vcc, s19, v8
	v_cndmask_b32_e32 v7, v12, v7, vcc
	v_cmp_ne_u32_e32 vcc, 0, v7
	v_cndmask_b32_e64 v7, v13, v11, s[0:1]
	v_cndmask_b32_e32 v8, v9, v10, vcc
	v_cndmask_b32_e32 v7, v4, v7, vcc
.LBB0_4:                                ;   in Loop: Header=BB0_2 Depth=1
	s_andn2_saveexec_b64 s[0:1], s[20:21]
	s_cbranch_execz .LBB0_6
; %bb.5:                                ;   in Loop: Header=BB0_2 Depth=1
	v_cvt_f32_u32_e32 v4, s18
	s_sub_i32 s20, 0, s18
	v_rcp_iflag_f32_e32 v4, v4
	v_mul_f32_e32 v4, 0x4f7ffffe, v4
	v_cvt_u32_f32_e32 v4, v4
	v_mul_lo_u32 v7, s20, v4
	v_mul_hi_u32 v7, v4, v7
	v_add_u32_e32 v4, v4, v7
	v_mul_hi_u32 v4, v5, v4
	v_mul_lo_u32 v7, v4, s18
	v_add_u32_e32 v8, 1, v4
	v_sub_u32_e32 v7, v5, v7
	v_subrev_u32_e32 v9, s18, v7
	v_cmp_le_u32_e32 vcc, s18, v7
	v_cndmask_b32_e32 v7, v7, v9, vcc
	v_cndmask_b32_e32 v4, v4, v8, vcc
	v_add_u32_e32 v8, 1, v4
	v_cmp_le_u32_e32 vcc, s18, v7
	v_cndmask_b32_e32 v7, v4, v8, vcc
	v_mov_b32_e32 v8, v3
.LBB0_6:                                ;   in Loop: Header=BB0_2 Depth=1
	s_or_b64 exec, exec, s[0:1]
	v_mul_lo_u32 v4, v8, s18
	v_mul_lo_u32 v11, v7, s19
	v_mad_u64_u32 v[9:10], s[0:1], v7, s18, 0
	s_load_dwordx2 s[0:1], s[6:7], 0x0
	s_add_u32 s16, s16, 1
	v_add3_u32 v4, v10, v11, v4
	v_sub_co_u32_e32 v5, vcc, v5, v9
	v_subb_co_u32_e32 v4, vcc, v6, v4, vcc
	s_waitcnt lgkmcnt(0)
	v_mul_lo_u32 v4, s0, v4
	v_mul_lo_u32 v6, s1, v5
	v_mad_u64_u32 v[1:2], s[0:1], s0, v5, v[1:2]
	s_addc_u32 s17, s17, 0
	s_add_u32 s6, s6, 8
	v_add3_u32 v2, v6, v2, v4
	v_mov_b32_e32 v4, s10
	v_mov_b32_e32 v5, s11
	s_addc_u32 s7, s7, 0
	v_cmp_ge_u64_e32 vcc, s[16:17], v[4:5]
	s_add_u32 s14, s14, 8
	s_addc_u32 s15, s15, 0
	s_cbranch_vccnz .LBB0_9
; %bb.7:                                ;   in Loop: Header=BB0_2 Depth=1
	v_mov_b32_e32 v5, v7
	v_mov_b32_e32 v6, v8
	s_branch .LBB0_2
.LBB0_8:
	v_mov_b32_e32 v8, v6
	v_mov_b32_e32 v7, v5
.LBB0_9:
	s_lshl_b64 s[0:1], s[10:11], 3
	s_add_u32 s0, s12, s0
	s_addc_u32 s1, s13, s1
	s_load_dwordx2 s[6:7], s[0:1], 0x0
	s_load_dwordx2 s[10:11], s[4:5], 0x20
	s_waitcnt lgkmcnt(0)
	v_mad_u64_u32 v[3:4], s[0:1], s6, v7, v[1:2]
	s_mov_b32 s0, 0x5050506
	v_mul_lo_u32 v5, s6, v8
	v_mul_lo_u32 v6, s7, v7
	v_mul_hi_u32 v1, v0, s0
	v_cmp_gt_u64_e64 s[0:1], s[10:11], v[7:8]
	v_mov_b32_e32 v2, 0
	v_add3_u32 v4, v6, v4, v5
	v_mul_u32_u24_e32 v1, 51, v1
	v_sub_u32_e32 v1, v0, v1
	v_lshlrev_b64 v[34:35], 3, v[3:4]
	v_mov_b32_e32 v32, v1
	s_and_saveexec_b64 s[4:5], s[0:1]
	s_cbranch_execz .LBB0_13
; %bb.10:
	v_mov_b32_e32 v0, s3
	v_add_co_u32_e32 v4, vcc, s2, v34
	v_lshlrev_b64 v[5:6], 3, v[1:2]
	v_addc_co_u32_e32 v0, vcc, v0, v35, vcc
	v_add_co_u32_e32 v5, vcc, v4, v5
	v_addc_co_u32_e32 v6, vcc, v0, v6, vcc
	v_add_co_u32_e32 v23, vcc, 0x1000, v5
	global_load_dwordx2 v[7:8], v[5:6], off
	global_load_dwordx2 v[9:10], v[5:6], off offset:408
	global_load_dwordx2 v[11:12], v[5:6], off offset:816
	;; [unrolled: 1-line block ×7, first 2 shown]
	v_addc_co_u32_e32 v24, vcc, 0, v6, vcc
	global_load_dwordx2 v[25:26], v[5:6], off offset:3264
	global_load_dwordx2 v[27:28], v[5:6], off offset:3672
	;; [unrolled: 1-line block ×4, first 2 shown]
	v_lshl_add_u32 v3, v1, 3, 0
	v_add_u32_e32 v5, 0x800, v3
	v_add_u32_e32 v6, 0xc00, v3
	v_cmp_eq_u32_e32 vcc, 50, v1
	s_waitcnt vmcnt(10)
	ds_write2_b64 v3, v[7:8], v[9:10] offset1:51
	s_waitcnt vmcnt(8)
	ds_write2_b64 v3, v[11:12], v[13:14] offset0:102 offset1:153
	s_waitcnt vmcnt(6)
	ds_write2_b64 v3, v[15:16], v[17:18] offset0:204 offset1:255
	;; [unrolled: 2-line block ×5, first 2 shown]
	v_mov_b32_e32 v3, v2
	v_mov_b32_e32 v2, v1
	s_and_saveexec_b64 s[6:7], vcc
	s_cbranch_execz .LBB0_12
; %bb.11:
	v_add_co_u32_e32 v1, vcc, 0x1000, v4
	v_addc_co_u32_e32 v2, vcc, 0, v0, vcc
	global_load_dwordx2 v[0:1], v[1:2], off offset:800
	v_mov_b32_e32 v4, 0
	v_mov_b32_e32 v2, 50
	;; [unrolled: 1-line block ×3, first 2 shown]
	s_waitcnt vmcnt(0)
	ds_write_b64 v4, v[0:1] offset:4896
	v_mov_b32_e32 v1, 50
.LBB0_12:
	s_or_b64 exec, exec, s[6:7]
	v_mov_b32_e32 v32, v1
	v_mov_b32_e32 v1, v2
	;; [unrolled: 1-line block ×3, first 2 shown]
.LBB0_13:
	s_or_b64 exec, exec, s[4:5]
	v_lshlrev_b32_e32 v0, 3, v32
	v_add_u32_e32 v42, 0, v0
	s_waitcnt lgkmcnt(0)
	; wave barrier
	s_waitcnt lgkmcnt(0)
	v_sub_u32_e32 v3, 0, v0
	ds_read_b32 v4, v42
	ds_read_b32 v5, v3 offset:4896
	s_add_u32 s6, s8, 0x1298
	v_lshlrev_b64 v[36:37], 3, v[1:2]
	s_addc_u32 s7, s9, 0
	v_cmp_ne_u32_e32 vcc, 0, v32
	s_waitcnt lgkmcnt(0)
	v_add_f32_e32 v0, v5, v4
	v_sub_f32_e32 v1, v4, v5
	s_and_saveexec_b64 s[4:5], vcc
	s_xor_b64 s[4:5], exec, s[4:5]
	s_cbranch_execz .LBB0_15
; %bb.14:
	v_mov_b32_e32 v1, s7
	v_add_co_u32_e32 v0, vcc, s6, v36
	v_addc_co_u32_e32 v1, vcc, v1, v37, vcc
	global_load_dwordx2 v[6:7], v[0:1], off
	ds_read_b32 v0, v3 offset:4900
	ds_read_b32 v1, v42 offset:4
	v_add_f32_e32 v2, v5, v4
	v_sub_f32_e32 v8, v4, v5
	s_waitcnt lgkmcnt(0)
	v_add_f32_e32 v9, v0, v1
	v_sub_f32_e32 v0, v1, v0
	s_waitcnt vmcnt(0)
	v_fma_f32 v4, -v8, v7, v2
	v_fma_f32 v5, v9, v7, -v0
	v_fma_f32 v10, v8, v7, v2
	v_fma_f32 v1, v9, v7, v0
	v_fmac_f32_e32 v4, v6, v9
	v_fmac_f32_e32 v5, v8, v6
	v_fma_f32 v0, -v6, v9, v10
	v_fmac_f32_e32 v1, v8, v6
	ds_write_b64 v3, v[4:5] offset:4896
.LBB0_15:
	s_andn2_saveexec_b64 s[4:5], s[4:5]
	s_cbranch_execz .LBB0_17
; %bb.16:
	v_mov_b32_e32 v2, 0
	ds_read_b64 v[4:5], v2 offset:2448
	s_waitcnt lgkmcnt(0)
	v_add_f32_e32 v4, v4, v4
	v_mul_f32_e32 v5, -2.0, v5
	ds_write_b64 v2, v[4:5] offset:2448
.LBB0_17:
	s_or_b64 exec, exec, s[4:5]
	v_mov_b32_e32 v33, 0
	v_lshlrev_b64 v[38:39], 3, v[32:33]
	v_mov_b32_e32 v2, s7
	v_add_co_u32_e32 v4, vcc, s6, v38
	v_addc_co_u32_e32 v5, vcc, v2, v39, vcc
	global_load_dwordx2 v[6:7], v[4:5], off offset:408
	global_load_dwordx2 v[8:9], v[4:5], off offset:816
	;; [unrolled: 1-line block ×4, first 2 shown]
	ds_write_b64 v42, v[0:1]
	ds_read_b64 v[0:1], v42 offset:408
	ds_read_b64 v[14:15], v3 offset:4488
	global_load_dwordx2 v[4:5], v[4:5], off offset:2040
	v_add_u32_e32 v33, 0x800, v42
	v_add_u32_e32 v43, 0xc00, v42
	v_cmp_gt_u32_e32 vcc, 36, v32
	s_waitcnt lgkmcnt(0)
	v_add_f32_e32 v2, v0, v14
	v_add_f32_e32 v16, v15, v1
	v_sub_f32_e32 v17, v0, v14
	v_sub_f32_e32 v14, v1, v15
	s_waitcnt vmcnt(4)
	v_fma_f32 v18, v17, v7, v2
	v_fma_f32 v15, v16, v7, v14
	v_fma_f32 v0, -v17, v7, v2
	v_fma_f32 v1, v16, v7, -v14
	v_fma_f32 v14, -v6, v16, v18
	v_fmac_f32_e32 v15, v17, v6
	v_fmac_f32_e32 v0, v6, v16
	v_fmac_f32_e32 v1, v17, v6
	ds_write_b64 v42, v[14:15] offset:408
	ds_write_b64 v3, v[0:1] offset:4488
	ds_read_b64 v[0:1], v42 offset:816
	ds_read_b64 v[6:7], v3 offset:4080
	s_waitcnt lgkmcnt(0)
	v_add_f32_e32 v2, v0, v6
	v_add_f32_e32 v14, v7, v1
	v_sub_f32_e32 v15, v0, v6
	v_sub_f32_e32 v6, v1, v7
	s_waitcnt vmcnt(3)
	v_fma_f32 v16, v15, v9, v2
	v_fma_f32 v7, v14, v9, v6
	v_fma_f32 v0, -v15, v9, v2
	v_fma_f32 v1, v14, v9, -v6
	v_fma_f32 v6, -v8, v14, v16
	v_fmac_f32_e32 v7, v15, v8
	v_fmac_f32_e32 v0, v8, v14
	v_fmac_f32_e32 v1, v15, v8
	ds_write_b64 v42, v[6:7] offset:816
	ds_write_b64 v3, v[0:1] offset:4080
	ds_read_b64 v[0:1], v42 offset:1224
	ds_read_b64 v[6:7], v3 offset:3672
	;; [unrolled: 18-line block ×4, first 2 shown]
	s_waitcnt lgkmcnt(0)
	v_add_f32_e32 v2, v0, v6
	v_add_f32_e32 v8, v7, v1
	v_sub_f32_e32 v9, v0, v6
	v_sub_f32_e32 v0, v1, v7
	s_waitcnt vmcnt(0)
	v_fma_f32 v10, v9, v5, v2
	v_fma_f32 v1, v8, v5, v0
	v_fma_f32 v6, -v9, v5, v2
	v_fma_f32 v7, v8, v5, -v0
	v_fma_f32 v0, -v4, v8, v10
	v_fmac_f32_e32 v1, v9, v4
	v_fmac_f32_e32 v6, v4, v8
	v_fmac_f32_e32 v7, v9, v4
	ds_write_b64 v42, v[0:1] offset:2040
	ds_write_b64 v3, v[6:7] offset:2856
	s_waitcnt lgkmcnt(0)
	; wave barrier
	s_waitcnt lgkmcnt(0)
	s_waitcnt lgkmcnt(0)
	; wave barrier
	s_waitcnt lgkmcnt(0)
	ds_read2_b64 v[0:3], v42 offset1:36
	ds_read2_b64 v[8:11], v42 offset0:72 offset1:108
	ds_read2_b64 v[16:19], v42 offset0:144 offset1:180
	ds_read_b64 v[40:41], v42 offset:4608
	ds_read2_b64 v[28:31], v42 offset0:216 offset1:252
	ds_read2_b64 v[4:7], v33 offset0:32 offset1:68
	;; [unrolled: 1-line block ×5, first 2 shown]
	s_waitcnt lgkmcnt(0)
	; wave barrier
	s_waitcnt lgkmcnt(0)
	s_and_saveexec_b64 s[4:5], vcc
	s_cbranch_execz .LBB0_19
; %bb.18:
	v_add_f32_e32 v49, v1, v3
	v_add_f32_e32 v49, v49, v9
	;; [unrolled: 1-line block ×13, first 2 shown]
	v_sub_f32_e32 v44, v28, v26
	v_add_f32_e32 v48, v25, v31
	v_add_f32_e32 v46, v26, v28
	;; [unrolled: 1-line block ×3, first 2 shown]
	v_sub_f32_e32 v49, v29, v27
	v_sub_f32_e32 v29, v31, v25
	v_add_f32_e32 v31, v50, v5
	v_add_f32_e32 v31, v31, v7
	;; [unrolled: 1-line block ×7, first 2 shown]
	v_sub_f32_e32 v45, v30, v24
	v_add_f32_e32 v28, v24, v30
	v_add_f32_e32 v24, v25, v24
	;; [unrolled: 1-line block ×4, first 2 shown]
	v_sub_f32_e32 v25, v18, v20
	v_sub_f32_e32 v27, v17, v23
	v_add_f32_e32 v17, v20, v18
	v_add_f32_e32 v18, v52, v21
	;; [unrolled: 1-line block ×4, first 2 shown]
	v_sub_f32_e32 v24, v16, v22
	v_add_f32_e32 v16, v22, v16
	v_add_f32_e32 v22, v18, v22
	;; [unrolled: 1-line block ×3, first 2 shown]
	v_sub_f32_e32 v26, v19, v21
	v_add_f32_e32 v50, v15, v9
	v_add_f32_e32 v21, v13, v11
	v_sub_f32_e32 v19, v10, v12
	v_sub_f32_e32 v20, v9, v15
	v_add_f32_e32 v9, v12, v10
	v_sub_f32_e32 v10, v11, v13
	v_add_f32_e32 v11, v41, v3
	v_add_f32_e32 v13, v23, v13
	;; [unrolled: 1-line block ×5, first 2 shown]
	v_mul_f32_e32 v12, 0xbf7ba420, v11
	v_mul_f32_e32 v15, 0xbf59a7d5, v11
	;; [unrolled: 1-line block ×8, first 2 shown]
	v_sub_f32_e32 v18, v8, v14
	v_add_f32_e32 v8, v14, v8
	v_sub_f32_e32 v13, v2, v40
	v_mov_b32_e32 v14, v12
	v_mov_b32_e32 v22, v15
	;; [unrolled: 1-line block ×8, first 2 shown]
	v_sub_f32_e32 v3, v3, v41
	v_fmac_f32_e32 v14, 0x3e3c28d5, v13
	v_fmac_f32_e32 v22, 0x3f06c442, v13
	;; [unrolled: 1-line block ×16, first 2 shown]
	s_mov_b32 s14, 0x3dbcf732
	v_add_f32_e32 v2, v40, v2
	v_mul_f32_e32 v13, 0xbe3c28d5, v3
	v_mul_f32_e32 v64, 0xbf06c442, v3
	;; [unrolled: 1-line block ×8, first 2 shown]
	s_mov_b32 s6, 0xbf7ba420
	s_mov_b32 s15, 0x3f6eb680
	s_mov_b32 s7, 0xbf59a7d5
	s_mov_b32 s12, 0x3f3d2fb0
	s_mov_b32 s10, 0xbf1a4643
	s_mov_b32 s13, 0x3ee437d1
	s_mov_b32 s11, 0xbe8c1d8e
	v_mov_b32_e32 v63, v13
	v_mov_b32_e32 v65, v64
	;; [unrolled: 1-line block ×8, first 2 shown]
	v_fma_f32 v70, v2, s14, -v70
	v_fmac_f32_e32 v63, 0xbf7ba420, v2
	v_fmac_f32_e32 v65, 0xbf59a7d5, v2
	;; [unrolled: 1-line block ×8, first 2 shown]
	v_fma_f32 v13, v2, s6, -v13
	v_fma_f32 v64, v2, s7, -v64
	;; [unrolled: 1-line block ×7, first 2 shown]
	v_add_f32_e32 v81, v1, v55
	v_add_f32_e32 v55, v1, v52
	;; [unrolled: 1-line block ×3, first 2 shown]
	v_mul_f32_e32 v70, 0x3f6eb680, v50
	v_add_f32_e32 v84, v1, v12
	v_add_f32_e32 v12, v0, v2
	v_mov_b32_e32 v2, v70
	v_add_f32_e32 v3, v1, v14
	v_add_f32_e32 v83, v1, v57
	;; [unrolled: 1-line block ×4, first 2 shown]
	v_fmac_f32_e32 v2, 0xbeb8f4ab, v18
	v_mul_f32_e32 v72, 0xbf59a7d5, v21
	v_add_f32_e32 v2, v2, v3
	v_mov_b32_e32 v3, v72
	v_add_f32_e32 v86, v1, v15
	v_add_f32_e32 v15, v0, v74
	v_fmac_f32_e32 v3, 0x3f06c442, v19
	v_mul_f32_e32 v74, 0x3f3d2fb0, v30
	v_add_f32_e32 v2, v3, v2
	v_mov_b32_e32 v3, v74
	v_fmac_f32_e32 v3, 0xbf2c7751, v24
	v_mul_f32_e32 v87, 0xbf1a4643, v31
	v_add_f32_e32 v2, v3, v2
	v_mov_b32_e32 v3, v87
	;; [unrolled: 4-line block ×5, first 2 shown]
	v_mul_f32_e32 v91, 0xbf06c442, v10
	v_add_f32_e32 v63, v0, v63
	v_add_f32_e32 v85, v0, v13
	;; [unrolled: 1-line block ×3, first 2 shown]
	v_sub_f32_e32 v13, v4, v6
	v_add_f32_e32 v11, v6, v4
	v_fmac_f32_e32 v3, 0x3f6eb680, v8
	v_mov_b32_e32 v4, v91
	v_add_f32_e32 v3, v3, v63
	v_fmac_f32_e32 v4, 0xbf59a7d5, v9
	v_mul_f32_e32 v92, 0x3f2c7751, v27
	v_add_f32_e32 v3, v4, v3
	v_mov_b32_e32 v4, v92
	v_fmac_f32_e32 v4, 0x3f3d2fb0, v16
	v_mul_f32_e32 v93, 0xbf4c4adb, v26
	v_add_f32_e32 v3, v4, v3
	v_mov_b32_e32 v4, v93
	;; [unrolled: 4-line block ×3, first 2 shown]
	v_fmac_f32_e32 v4, 0x3ee437d1, v46
	v_mul_f32_e32 v95, 0xbf763a35, v29
	v_add_f32_e32 v82, v1, v56
	v_add_f32_e32 v56, v0, v66
	;; [unrolled: 1-line block ×4, first 2 shown]
	v_mov_b32_e32 v4, v95
	v_fmac_f32_e32 v4, 0xbe8c1d8e, v28
	v_mul_f32_e32 v96, 0x3dbcf732, v66
	v_add_f32_e32 v80, v1, v54
	v_add_f32_e32 v54, v0, v68
	v_sub_f32_e32 v68, v5, v7
	v_add_f32_e32 v4, v4, v3
	v_mov_b32_e32 v3, v96
	v_fmac_f32_e32 v3, 0xbf7ee86f, v13
	v_mul_f32_e32 v97, 0x3f7ee86f, v68
	v_add_f32_e32 v3, v3, v2
	v_mov_b32_e32 v2, v97
	v_fmac_f32_e32 v2, 0x3dbcf732, v11
	v_mul_f32_e32 v98, 0x3ee437d1, v50
	v_add_f32_e32 v2, v2, v4
	v_mov_b32_e32 v4, v98
	v_add_f32_e32 v77, v1, v22
	v_fmac_f32_e32 v4, 0xbf65296c, v18
	v_add_f32_e32 v4, v4, v77
	v_mul_f32_e32 v77, 0x3dbcf732, v21
	v_mov_b32_e32 v5, v77
	v_fmac_f32_e32 v5, 0x3f7ee86f, v19
	v_mul_f32_e32 v99, 0xbf1a4643, v30
	v_add_f32_e32 v4, v5, v4
	v_mov_b32_e32 v5, v99
	v_fmac_f32_e32 v5, 0xbf4c4adb, v24
	v_mul_f32_e32 v100, 0x3f6eb680, v31
	v_add_f32_e32 v4, v5, v4
	;; [unrolled: 4-line block ×5, first 2 shown]
	v_mov_b32_e32 v5, v103
	v_add_f32_e32 v65, v0, v65
	v_fmac_f32_e32 v5, 0x3ee437d1, v8
	v_add_f32_e32 v5, v5, v65
	v_mul_f32_e32 v65, 0xbf7ee86f, v10
	v_mov_b32_e32 v6, v65
	v_fmac_f32_e32 v6, 0x3dbcf732, v9
	v_mul_f32_e32 v104, 0x3f4c4adb, v27
	v_add_f32_e32 v5, v6, v5
	v_mov_b32_e32 v6, v104
	v_fmac_f32_e32 v6, 0xbf1a4643, v16
	v_mul_f32_e32 v105, 0xbeb8f4ab, v26
	v_add_f32_e32 v5, v6, v5
	;; [unrolled: 4-line block ×7, first 2 shown]
	v_mov_b32_e32 v6, v110
	v_add_f32_e32 v78, v1, v51
	v_fmac_f32_e32 v6, 0xbf763a35, v18
	v_add_f32_e32 v6, v6, v78
	v_mul_f32_e32 v78, 0x3f6eb680, v21
	v_mov_b32_e32 v7, v78
	v_fmac_f32_e32 v7, 0x3eb8f4ab, v19
	v_mul_f32_e32 v111, 0xbf59a7d5, v30
	v_add_f32_e32 v6, v7, v6
	v_mov_b32_e32 v7, v111
	v_fmac_f32_e32 v7, 0x3f06c442, v24
	v_mul_f32_e32 v112, 0x3dbcf732, v31
	v_add_f32_e32 v6, v7, v6
	;; [unrolled: 4-line block ×5, first 2 shown]
	v_mov_b32_e32 v7, v115
	v_add_f32_e32 v67, v0, v67
	v_fmac_f32_e32 v7, 0xbe8c1d8e, v8
	v_add_f32_e32 v7, v7, v67
	v_mul_f32_e32 v67, 0xbeb8f4ab, v10
	v_add_f32_e32 v69, v0, v69
	v_add_f32_e32 v71, v0, v71
	;; [unrolled: 1-line block ×7, first 2 shown]
	v_mov_b32_e32 v40, v67
	v_fmac_f32_e32 v40, 0x3f6eb680, v9
	v_mul_f32_e32 v116, 0xbf06c442, v27
	v_add_f32_e32 v7, v40, v7
	v_mov_b32_e32 v40, v116
	v_fmac_f32_e32 v40, 0xbf59a7d5, v16
	v_mul_f32_e32 v117, 0x3f7ee86f, v26
	v_add_f32_e32 v7, v40, v7
	;; [unrolled: 4-line block ×7, first 2 shown]
	v_mov_b32_e32 v40, v122
	v_add_f32_e32 v79, v1, v53
	v_fmac_f32_e32 v40, 0xbf06c442, v18
	v_add_f32_e32 v40, v40, v79
	v_mul_f32_e32 v79, 0x3f3d2fb0, v21
	v_add_f32_e32 v53, v1, v60
	v_add_f32_e32 v51, v1, v61
	;; [unrolled: 1-line block ×4, first 2 shown]
	v_mov_b32_e32 v41, v79
	v_fmac_f32_e32 v41, 0xbf2c7751, v19
	v_mul_f32_e32 v123, 0x3ee437d1, v30
	v_add_f32_e32 v40, v41, v40
	v_mov_b32_e32 v41, v123
	v_fmac_f32_e32 v41, 0x3f65296c, v24
	v_mul_f32_e32 v124, 0xbf7ba420, v31
	v_add_f32_e32 v40, v41, v40
	v_mov_b32_e32 v41, v124
	v_fmac_f32_e32 v41, 0x3e3c28d5, v25
	v_mul_f32_e32 v125, 0x3dbcf732, v47
	v_add_f32_e32 v40, v41, v40
	v_mov_b32_e32 v41, v125
	v_fmac_f32_e32 v41, 0xbf7ee86f, v44
	v_mul_f32_e32 v126, 0x3f6eb680, v48
	v_add_f32_e32 v40, v41, v40
	v_mov_b32_e32 v41, v126
	v_fmac_f32_e32 v41, 0x3eb8f4ab, v45
	v_mul_f32_e32 v127, 0x3f06c442, v20
	v_add_f32_e32 v40, v41, v40
	v_mov_b32_e32 v41, v127
	v_fmac_f32_e32 v41, 0xbf59a7d5, v8
	v_add_f32_e32 v41, v41, v69
	v_mul_f32_e32 v69, 0x3f2c7751, v10
	v_mov_b32_e32 v58, v69
	v_fmac_f32_e32 v58, 0x3f3d2fb0, v9
	v_mul_f32_e32 v128, 0xbf65296c, v27
	v_add_f32_e32 v41, v58, v41
	v_mov_b32_e32 v58, v128
	v_fmac_f32_e32 v58, 0x3ee437d1, v16
	v_mul_f32_e32 v129, 0xbe3c28d5, v26
	v_add_f32_e32 v41, v58, v41
	v_mov_b32_e32 v58, v129
	v_fmac_f32_e32 v58, 0xbf7ba420, v17
	v_mul_f32_e32 v130, 0x3f7ee86f, v49
	v_add_f32_e32 v41, v58, v41
	v_mov_b32_e32 v58, v130
	v_fmac_f32_e32 v58, 0x3dbcf732, v46
	v_mul_f32_e32 v131, 0xbeb8f4ab, v29
	v_add_f32_e32 v41, v58, v41
	v_mov_b32_e32 v58, v131
	v_fmac_f32_e32 v58, 0x3f6eb680, v28
	v_mul_f32_e32 v132, 0xbf1a4643, v66
	v_add_f32_e32 v58, v58, v41
	v_mov_b32_e32 v41, v132
	v_fmac_f32_e32 v41, 0x3f4c4adb, v13
	v_mul_f32_e32 v133, 0xbf4c4adb, v68
	v_add_f32_e32 v41, v41, v40
	v_mov_b32_e32 v40, v133
	v_fmac_f32_e32 v40, 0xbf1a4643, v11
	v_mul_f32_e32 v134, 0xbf7ba420, v50
	v_add_f32_e32 v40, v40, v58
	v_mov_b32_e32 v58, v134
	v_fmac_f32_e32 v58, 0x3e3c28d5, v18
	v_add_f32_e32 v58, v58, v80
	v_mul_f32_e32 v80, 0xbe8c1d8e, v21
	v_mov_b32_e32 v59, v80
	v_fmac_f32_e32 v59, 0xbf763a35, v19
	v_mul_f32_e32 v135, 0x3f6eb680, v30
	v_add_f32_e32 v58, v59, v58
	v_mov_b32_e32 v59, v135
	v_fmac_f32_e32 v59, 0xbeb8f4ab, v24
	v_mul_f32_e32 v136, 0x3ee437d1, v31
	v_add_f32_e32 v58, v59, v58
	v_mov_b32_e32 v59, v136
	v_fmac_f32_e32 v59, 0x3f65296c, v25
	v_mul_f32_e32 v137, 0xbf59a7d5, v47
	v_add_f32_e32 v58, v59, v58
	v_mov_b32_e32 v59, v137
	v_fmac_f32_e32 v59, 0x3f06c442, v44
	v_mul_f32_e32 v138, 0xbf1a4643, v48
	v_add_f32_e32 v58, v59, v58
	v_mov_b32_e32 v59, v138
	v_fmac_f32_e32 v59, 0xbf4c4adb, v45
	v_mul_f32_e32 v139, 0xbe3c28d5, v20
	v_add_f32_e32 v58, v59, v58
	v_mov_b32_e32 v59, v139
	v_fmac_f32_e32 v59, 0xbf7ba420, v8
	v_add_f32_e32 v59, v59, v71
	v_mul_f32_e32 v71, 0x3f763a35, v10
	v_mov_b32_e32 v60, v71
	v_fmac_f32_e32 v60, 0xbe8c1d8e, v9
	v_mul_f32_e32 v140, 0x3eb8f4ab, v27
	v_add_f32_e32 v59, v60, v59
	v_mov_b32_e32 v60, v140
	v_fmac_f32_e32 v60, 0x3f6eb680, v16
	v_mul_f32_e32 v141, 0xbf65296c, v26
	v_add_f32_e32 v59, v60, v59
	v_mov_b32_e32 v60, v141
	v_fmac_f32_e32 v60, 0x3ee437d1, v17
	v_mul_f32_e32 v142, 0xbf06c442, v49
	v_add_f32_e32 v59, v60, v59
	v_mov_b32_e32 v60, v142
	v_fmac_f32_e32 v60, 0xbf59a7d5, v46
	v_mul_f32_e32 v143, 0x3f4c4adb, v29
	v_add_f32_e32 v59, v60, v59
	v_mov_b32_e32 v60, v143
	v_fmac_f32_e32 v60, 0xbf1a4643, v28
	v_mul_f32_e32 v144, 0x3f3d2fb0, v66
	v_add_f32_e32 v60, v60, v59
	v_mov_b32_e32 v59, v144
	v_fmac_f32_e32 v59, 0xbf2c7751, v13
	v_mul_f32_e32 v145, 0x3f2c7751, v68
	v_add_f32_e32 v59, v59, v58
	v_mov_b32_e32 v58, v145
	v_fmac_f32_e32 v58, 0x3f3d2fb0, v11
	v_mul_f32_e32 v146, 0xbf1a4643, v50
	v_add_f32_e32 v58, v58, v60
	v_mov_b32_e32 v60, v146
	v_fmac_f32_e32 v60, 0x3f4c4adb, v18
	v_add_f32_e32 v60, v60, v81
	v_mul_f32_e32 v81, 0xbf7ba420, v21
	v_mov_b32_e32 v61, v81
	v_fmac_f32_e32 v61, 0xbe3c28d5, v19
	v_mul_f32_e32 v147, 0xbe8c1d8e, v30
	v_add_f32_e32 v60, v61, v60
	v_mov_b32_e32 v61, v147
	v_fmac_f32_e32 v61, 0xbf763a35, v24
	v_mul_f32_e32 v148, 0x3f3d2fb0, v31
	v_add_f32_e32 v60, v61, v60
	v_mov_b32_e32 v61, v148
	v_fmac_f32_e32 v61, 0xbf2c7751, v25
	v_mul_f32_e32 v149, 0x3f6eb680, v47
	v_add_f32_e32 v60, v61, v60
	v_mov_b32_e32 v61, v149
	v_fmac_f32_e32 v61, 0x3eb8f4ab, v44
	v_mul_f32_e32 v150, 0x3dbcf732, v48
	v_add_f32_e32 v60, v61, v60
	v_mov_b32_e32 v61, v150
	v_fmac_f32_e32 v61, 0x3f7ee86f, v45
	v_mul_f32_e32 v151, 0xbf4c4adb, v20
	v_add_f32_e32 v60, v61, v60
	v_mov_b32_e32 v61, v151
	v_fmac_f32_e32 v61, 0xbf1a4643, v8
	v_add_f32_e32 v61, v61, v73
	v_mul_f32_e32 v73, 0x3e3c28d5, v10
	v_mov_b32_e32 v62, v73
	v_fmac_f32_e32 v62, 0xbf7ba420, v9
	v_mul_f32_e32 v152, 0x3f763a35, v27
	v_add_f32_e32 v61, v62, v61
	v_mov_b32_e32 v62, v152
	v_fmac_f32_e32 v62, 0xbe8c1d8e, v16
	v_mul_f32_e32 v153, 0x3f2c7751, v26
	v_add_f32_e32 v61, v62, v61
	v_mov_b32_e32 v62, v153
	v_fmac_f32_e32 v62, 0x3f3d2fb0, v17
	v_mul_f32_e32 v154, 0xbeb8f4ab, v49
	v_add_f32_e32 v61, v62, v61
	v_mov_b32_e32 v62, v154
	v_fmac_f32_e32 v62, 0x3f6eb680, v46
	v_mul_f32_e32 v155, 0xbf7ee86f, v29
	v_add_f32_e32 v61, v62, v61
	v_mov_b32_e32 v62, v155
	v_fmac_f32_e32 v62, 0x3dbcf732, v28
	v_mul_f32_e32 v156, 0xbf59a7d5, v66
	v_add_f32_e32 v62, v62, v61
	v_mov_b32_e32 v61, v156
	v_fmac_f32_e32 v61, 0x3f06c442, v13
	v_mul_f32_e32 v157, 0xbf06c442, v68
	v_add_f32_e32 v61, v61, v60
	v_mov_b32_e32 v60, v157
	v_fmac_f32_e32 v60, 0xbf59a7d5, v11
	v_mul_f32_e32 v158, 0x3dbcf732, v50
	v_add_f32_e32 v60, v60, v62
	v_mov_b32_e32 v62, v158
	v_fmac_f32_e32 v62, 0x3f7ee86f, v18
	v_add_f32_e32 v62, v62, v82
	v_mul_f32_e32 v82, 0xbf1a4643, v21
	v_mov_b32_e32 v63, v82
	v_fmac_f32_e32 v63, 0x3f4c4adb, v19
	v_mul_f32_e32 v159, 0xbf7ba420, v30
	v_add_f32_e32 v62, v63, v62
	v_mov_b32_e32 v63, v159
	v_fmac_f32_e32 v63, 0x3e3c28d5, v24
	v_mul_f32_e32 v160, 0xbf59a7d5, v31
	v_add_f32_e32 v62, v63, v62
	v_mov_b32_e32 v63, v160
	v_fmac_f32_e32 v63, 0xbf06c442, v25
	v_mul_f32_e32 v161, 0xbe8c1d8e, v47
	v_add_f32_e32 v62, v63, v62
	v_mov_b32_e32 v63, v161
	v_fmac_f32_e32 v63, 0xbf763a35, v44
	v_mul_f32_e32 v162, 0x3ee437d1, v48
	v_add_f32_e32 v62, v63, v62
	v_mov_b32_e32 v63, v162
	v_fmac_f32_e32 v63, 0xbf65296c, v45
	v_mul_f32_e32 v163, 0xbf7ee86f, v20
	v_add_f32_e32 v62, v63, v62
	v_mov_b32_e32 v63, v163
	v_fmac_f32_e32 v63, 0x3dbcf732, v8
	v_add_f32_e32 v63, v63, v75
	v_mul_f32_e32 v75, 0xbf4c4adb, v10
	v_mov_b32_e32 v164, v75
	v_fmac_f32_e32 v164, 0xbf1a4643, v9
	v_add_f32_e32 v63, v164, v63
	v_mul_f32_e32 v164, 0xbe3c28d5, v27
	v_mov_b32_e32 v165, v164
	v_fmac_f32_e32 v165, 0xbf7ba420, v16
	v_add_f32_e32 v63, v165, v63
	v_mul_f32_e32 v165, 0x3f06c442, v26
	v_mov_b32_e32 v166, v165
	v_fmac_f32_e32 v166, 0xbf59a7d5, v17
	v_add_f32_e32 v63, v166, v63
	v_mul_f32_e32 v166, 0x3f763a35, v49
	v_mov_b32_e32 v167, v166
	v_fmac_f32_e32 v167, 0xbe8c1d8e, v46
	v_add_f32_e32 v63, v167, v63
	v_mul_f32_e32 v167, 0x3f65296c, v29
	v_mov_b32_e32 v168, v167
	v_fmac_f32_e32 v168, 0x3ee437d1, v28
	v_mul_f32_e32 v169, 0x3f6eb680, v66
	v_add_f32_e32 v168, v168, v63
	v_mov_b32_e32 v63, v169
	v_fmac_f32_e32 v63, 0xbeb8f4ab, v13
	v_mul_f32_e32 v170, 0x3eb8f4ab, v68
	v_add_f32_e32 v63, v63, v62
	v_mov_b32_e32 v62, v170
	v_fmac_f32_e32 v62, 0x3f6eb680, v11
	v_add_f32_e32 v62, v62, v168
	v_mul_f32_e32 v168, 0x3f3d2fb0, v50
	v_mov_b32_e32 v50, v168
	v_fmac_f32_e32 v50, 0x3f2c7751, v18
	v_add_f32_e32 v50, v50, v83
	v_mul_f32_e32 v83, 0x3ee437d1, v21
	v_mov_b32_e32 v21, v83
	v_mul_f32_e32 v171, 0x3dbcf732, v30
	v_fmac_f32_e32 v21, 0x3f65296c, v19
	v_mov_b32_e32 v30, v171
	v_add_f32_e32 v21, v21, v50
	v_fmac_f32_e32 v30, 0x3f7ee86f, v24
	v_mul_f32_e32 v31, 0xbe8c1d8e, v31
	v_add_f32_e32 v21, v30, v21
	v_mov_b32_e32 v30, v31
	v_fmac_f32_e32 v30, 0x3f763a35, v25
	v_mul_f32_e32 v172, 0xbf1a4643, v47
	v_add_f32_e32 v21, v30, v21
	v_mov_b32_e32 v30, v172
	v_fmac_f32_e32 v30, 0x3f4c4adb, v44
	v_mul_f32_e32 v173, 0xbf59a7d5, v48
	v_mul_f32_e32 v174, 0xbf2c7751, v20
	v_add_f32_e32 v21, v30, v21
	v_mov_b32_e32 v30, v173
	v_mov_b32_e32 v20, v174
	v_fmac_f32_e32 v30, 0x3f06c442, v45
	v_fmac_f32_e32 v20, 0x3f3d2fb0, v8
	v_mul_f32_e32 v10, 0xbf65296c, v10
	v_add_f32_e32 v21, v30, v21
	v_add_f32_e32 v20, v20, v76
	v_mov_b32_e32 v30, v10
	v_mul_f32_e32 v76, 0xbf7ee86f, v27
	v_fmac_f32_e32 v30, 0x3ee437d1, v9
	v_mov_b32_e32 v27, v76
	v_mul_f32_e32 v175, 0xbf763a35, v26
	v_add_f32_e32 v20, v30, v20
	v_fmac_f32_e32 v27, 0x3dbcf732, v16
	v_mov_b32_e32 v26, v175
	v_add_f32_e32 v20, v27, v20
	v_fmac_f32_e32 v26, 0xbe8c1d8e, v17
	v_mul_f32_e32 v176, 0xbf4c4adb, v49
	v_add_f32_e32 v20, v26, v20
	v_mov_b32_e32 v26, v176
	v_fmac_f32_e32 v26, 0xbf1a4643, v46
	v_mul_f32_e32 v177, 0xbf06c442, v29
	v_add_f32_e32 v20, v26, v20
	v_mov_b32_e32 v26, v177
	;; [unrolled: 4-line block ×4, first 2 shown]
	v_fmac_f32_e32 v26, 0xbf7ba420, v11
	v_fmac_f32_e32 v70, 0x3eb8f4ab, v18
	v_add_f32_e32 v20, v26, v20
	v_add_f32_e32 v26, v70, v84
	v_fmac_f32_e32 v72, 0xbf06c442, v19
	v_fma_f32 v27, v8, s15, -v90
	v_add_f32_e32 v26, v72, v26
	v_fmac_f32_e32 v74, 0x3f2c7751, v24
	v_add_f32_e32 v27, v27, v85
	v_fma_f32 v29, v9, s7, -v91
	v_add_f32_e32 v26, v74, v26
	v_fmac_f32_e32 v87, 0xbf4c4adb, v25
	v_add_f32_e32 v27, v29, v27
	v_fma_f32 v29, v16, s12, -v92
	v_add_f32_e32 v26, v87, v26
	v_fmac_f32_e32 v88, 0x3f65296c, v44
	v_add_f32_e32 v27, v29, v27
	v_fma_f32 v29, v17, s10, -v93
	v_add_f32_e32 v26, v88, v26
	v_fmac_f32_e32 v89, 0xbf763a35, v45
	v_add_f32_e32 v27, v29, v27
	v_fma_f32 v29, v46, s13, -v94
	v_add_f32_e32 v26, v89, v26
	v_add_f32_e32 v27, v29, v27
	v_fma_f32 v29, v28, s11, -v95
	v_fmac_f32_e32 v96, 0x3f7ee86f, v13
	v_add_f32_e32 v29, v29, v27
	v_add_f32_e32 v27, v96, v26
	v_fma_f32 v26, v11, s14, -v97
	v_fmac_f32_e32 v98, 0x3f65296c, v18
	v_add_f32_e32 v26, v26, v29
	v_add_f32_e32 v29, v98, v86
	v_fmac_f32_e32 v77, 0xbf7ee86f, v19
	v_fma_f32 v30, v8, s13, -v103
	v_add_f32_e32 v29, v77, v29
	v_fmac_f32_e32 v99, 0x3f4c4adb, v24
	v_add_f32_e32 v30, v30, v64
	v_fma_f32 v47, v9, s14, -v65
	v_add_f32_e32 v29, v99, v29
	v_fmac_f32_e32 v100, 0xbeb8f4ab, v25
	v_add_f32_e32 v30, v47, v30
	v_fma_f32 v47, v16, s10, -v104
	v_add_f32_e32 v29, v100, v29
	v_fmac_f32_e32 v101, 0xbe3c28d5, v44
	v_add_f32_e32 v30, v47, v30
	v_fma_f32 v47, v17, s15, -v105
	v_add_f32_e32 v29, v101, v29
	v_fmac_f32_e32 v102, 0x3f2c7751, v45
	v_add_f32_e32 v30, v47, v30
	v_fma_f32 v47, v46, s6, -v106
	v_add_f32_e32 v29, v102, v29
	v_add_f32_e32 v30, v47, v30
	v_fma_f32 v47, v28, s12, -v107
	v_fmac_f32_e32 v108, 0xbf763a35, v13
	v_add_f32_e32 v47, v47, v30
	v_add_f32_e32 v30, v108, v29
	v_fma_f32 v29, v11, s11, -v109
	;; [unrolled: 28-line block ×4, first 2 shown]
	v_add_f32_e32 v49, v49, v54
	v_fma_f32 v54, v8, s6, -v139
	v_add_f32_e32 v52, v54, v52
	v_fma_f32 v54, v9, s11, -v71
	;; [unrolled: 2-line block ×7, first 2 shown]
	v_fmac_f32_e32 v146, 0xbf4c4adb, v18
	v_add_f32_e32 v52, v54, v52
	v_add_f32_e32 v51, v146, v51
	v_fmac_f32_e32 v81, 0x3e3c28d5, v19
	v_fma_f32 v54, v8, s10, -v151
	v_add_f32_e32 v51, v81, v51
	v_fmac_f32_e32 v147, 0x3f763a35, v24
	v_add_f32_e32 v23, v54, v23
	v_fma_f32 v54, v9, s6, -v73
	v_add_f32_e32 v51, v147, v51
	v_fmac_f32_e32 v148, 0x3f2c7751, v25
	v_add_f32_e32 v23, v54, v23
	;; [unrolled: 4-line block ×4, first 2 shown]
	v_fma_f32 v54, v46, s15, -v154
	v_add_f32_e32 v51, v150, v51
	v_add_f32_e32 v23, v54, v23
	v_fma_f32 v54, v28, s14, -v155
	v_fmac_f32_e32 v156, 0xbf06c442, v13
	v_add_f32_e32 v23, v54, v23
	v_add_f32_e32 v55, v156, v51
	v_fma_f32 v51, v11, s7, -v157
	v_add_f32_e32 v54, v51, v23
	v_fmac_f32_e32 v158, 0xbf7ee86f, v18
	v_fma_f32 v23, v8, s14, -v163
	v_fma_f32 v8, v8, s12, -v174
	v_fmac_f32_e32 v134, 0xbe3c28d5, v18
	v_add_f32_e32 v22, v158, v22
	v_fmac_f32_e32 v82, 0xbf4c4adb, v19
	v_add_f32_e32 v15, v23, v15
	v_fma_f32 v23, v9, s10, -v75
	v_fmac_f32_e32 v168, 0xbf2c7751, v18
	v_add_f32_e32 v8, v8, v12
	v_fma_f32 v9, v9, s13, -v10
	v_add_f32_e32 v53, v134, v53
	v_fmac_f32_e32 v80, 0x3f763a35, v19
	v_add_f32_e32 v22, v82, v22
	v_fmac_f32_e32 v159, 0xbe3c28d5, v24
	;; [unrolled: 2-line block ×3, first 2 shown]
	v_add_f32_e32 v8, v9, v8
	v_fma_f32 v9, v16, s14, -v76
	v_add_f32_e32 v53, v80, v53
	v_fmac_f32_e32 v135, 0x3eb8f4ab, v24
	v_add_f32_e32 v22, v159, v22
	v_fmac_f32_e32 v160, 0x3f06c442, v25
	v_add_f32_e32 v15, v23, v15
	v_fma_f32 v23, v16, s6, -v164
	v_add_f32_e32 v14, v83, v14
	v_fmac_f32_e32 v171, 0xbf7ee86f, v24
	v_add_f32_e32 v8, v9, v8
	v_fma_f32 v9, v17, s11, -v175
	v_add_f32_e32 v53, v135, v53
	v_fmac_f32_e32 v136, 0xbf65296c, v25
	v_add_f32_e32 v22, v160, v22
	v_fmac_f32_e32 v161, 0x3f763a35, v44
	v_add_f32_e32 v15, v23, v15
	v_fma_f32 v23, v17, s7, -v165
	v_add_f32_e32 v14, v171, v14
	v_fmac_f32_e32 v31, 0xbf763a35, v25
	;; [unrolled: 10-line block ×3, first 2 shown]
	v_add_f32_e32 v8, v10, v8
	v_fma_f32 v10, v28, s7, -v177
	v_add_f32_e32 v53, v137, v53
	v_fmac_f32_e32 v138, 0x3f4c4adb, v45
	v_add_f32_e32 v22, v162, v22
	v_add_f32_e32 v15, v23, v15
	v_fma_f32 v23, v28, s13, -v167
	v_fmac_f32_e32 v169, 0x3eb8f4ab, v13
	v_add_f32_e32 v14, v172, v14
	v_fmac_f32_e32 v173, 0xbf06c442, v45
	v_add_f32_e32 v8, v10, v8
	v_fma_f32 v10, v11, s6, -v68
	v_add_f32_e32 v53, v138, v53
	v_fmac_f32_e32 v144, 0x3f2c7751, v13
	v_add_f32_e32 v15, v23, v15
	v_add_f32_e32 v23, v169, v22
	v_fma_f32 v22, v11, s15, -v170
	v_add_f32_e32 v14, v173, v14
	v_fmac_f32_e32 v66, 0xbe3c28d5, v13
	v_add_f32_e32 v8, v10, v8
	v_lshl_add_u32 v10, v32, 7, v42
	v_add_f32_e32 v53, v144, v53
	v_add_f32_e32 v22, v22, v15
	;; [unrolled: 1-line block ×3, first 2 shown]
	ds_write2_b64 v10, v[0:1], v[20:21] offset1:1
	ds_write2_b64 v10, v[62:63], v[60:61] offset0:2 offset1:3
	ds_write2_b64 v10, v[58:59], v[40:41] offset0:4 offset1:5
	;; [unrolled: 1-line block ×7, first 2 shown]
	ds_write_b64 v10, v[8:9] offset:128
.LBB0_19:
	s_or_b64 exec, exec, s[4:5]
	s_movk_i32 s4, 0xf1
	v_mul_lo_u16_sdwa v0, v32, s4 dst_sel:DWORD dst_unused:UNUSED_PAD src0_sel:BYTE_0 src1_sel:DWORD
	v_lshrrev_b16_e32 v50, 12, v0
	v_mul_lo_u16_e32 v0, 17, v50
	v_sub_u16_e32 v51, v32, v0
	v_add_u16_e32 v0, 51, v32
	v_mul_lo_u16_sdwa v1, v0, s4 dst_sel:DWORD dst_unused:UNUSED_PAD src0_sel:BYTE_0 src1_sel:DWORD
	v_lshrrev_b16_e32 v52, 12, v1
	v_mov_b32_e32 v12, 4
	v_mul_lo_u16_e32 v1, 17, v52
	v_lshlrev_b32_sdwa v8, v12, v51 dst_sel:DWORD dst_unused:UNUSED_PAD src0_sel:DWORD src1_sel:BYTE_0
	v_sub_u16_e32 v53, v0, v1
	s_waitcnt lgkmcnt(0)
	; wave barrier
	s_waitcnt lgkmcnt(0)
	v_lshlrev_b32_sdwa v9, v12, v53 dst_sel:DWORD dst_unused:UNUSED_PAD src0_sel:DWORD src1_sel:BYTE_0
	global_load_dwordx4 v[0:3], v8, s[8:9]
	global_load_dwordx4 v[4:7], v9, s[8:9]
	v_add_u16_e32 v8, 0x66, v32
	v_mul_lo_u16_sdwa v9, v8, s4 dst_sel:DWORD dst_unused:UNUSED_PAD src0_sel:BYTE_0 src1_sel:DWORD
	v_lshrrev_b16_e32 v54, 12, v9
	v_mul_lo_u16_e32 v9, 17, v54
	v_add_u16_e32 v13, 0x99, v32
	v_sub_u16_e32 v55, v8, v9
	v_mul_lo_u16_sdwa v9, v13, s4 dst_sel:DWORD dst_unused:UNUSED_PAD src0_sel:BYTE_0 src1_sel:DWORD
	v_lshrrev_b16_e32 v56, 12, v9
	v_mul_lo_u16_e32 v14, 17, v56
	v_lshlrev_b32_sdwa v8, v12, v55 dst_sel:DWORD dst_unused:UNUSED_PAD src0_sel:DWORD src1_sel:BYTE_0
	v_sub_u16_e32 v57, v13, v14
	global_load_dwordx4 v[8:11], v8, s[8:9]
	v_lshlrev_b32_sdwa v12, v12, v57 dst_sel:DWORD dst_unused:UNUSED_PAD src0_sel:DWORD src1_sel:BYTE_0
	global_load_dwordx4 v[12:15], v12, s[8:9]
	ds_read2_b64 v[16:19], v42 offset1:51
	ds_read2_b64 v[20:23], v42 offset0:204 offset1:255
	ds_read2_b64 v[24:27], v33 offset0:101 offset1:152
	;; [unrolled: 1-line block ×4, first 2 shown]
	ds_read2_b32 v[40:41], v33 offset0:100 offset1:101
	ds_read_b64 v[48:49], v42 offset:4488
	s_waitcnt lgkmcnt(0)
	; wave barrier
	s_waitcnt lgkmcnt(0)
	s_movk_i32 s4, 0x1000
	s_waitcnt vmcnt(3)
	v_mul_f32_e32 v58, v1, v21
	v_mul_f32_e32 v59, v3, v27
	s_waitcnt vmcnt(2)
	v_mul_f32_e32 v60, v5, v23
	v_mul_f32_e32 v5, v5, v22
	;; [unrolled: 1-line block ×4, first 2 shown]
	v_fmac_f32_e32 v58, v0, v20
	v_fmac_f32_e32 v59, v2, v26
	v_fmac_f32_e32 v60, v4, v22
	v_fma_f32 v20, v4, v23, -v5
	v_mul_f32_e32 v61, v7, v29
	v_mul_f32_e32 v7, v7, v28
	v_fma_f32 v0, v0, v21, -v1
	s_waitcnt vmcnt(1)
	v_mul_f32_e32 v62, v41, v9
	v_mul_f32_e32 v9, v9, v40
	;; [unrolled: 1-line block ×4, first 2 shown]
	s_waitcnt vmcnt(0)
	v_mul_f32_e32 v64, v25, v13
	v_mul_f32_e32 v13, v24, v13
	v_fma_f32 v22, v41, v8, -v9
	v_fma_f32 v23, v31, v10, -v11
	v_mul_f32_e32 v65, v49, v15
	v_fma_f32 v1, v2, v27, -v3
	v_fmac_f32_e32 v64, v24, v12
	v_fma_f32 v24, v25, v12, -v13
	v_add_f32_e32 v2, v16, v58
	v_add_f32_e32 v3, v58, v59
	;; [unrolled: 1-line block ×3, first 2 shown]
	v_mul_f32_e32 v15, v48, v15
	v_fmac_f32_e32 v61, v6, v28
	v_fma_f32 v21, v6, v29, -v7
	v_fmac_f32_e32 v62, v8, v40
	v_fmac_f32_e32 v63, v30, v10
	;; [unrolled: 1-line block ×3, first 2 shown]
	v_sub_f32_e32 v5, v0, v1
	v_add_f32_e32 v4, v17, v0
	v_add_f32_e32 v6, v0, v1
	;; [unrolled: 1-line block ×3, first 2 shown]
	v_fma_f32 v2, -0.5, v3, v16
	v_fma_f32 v13, -0.5, v13, v45
	v_fma_f32 v25, v49, v14, -v15
	v_add_f32_e32 v7, v18, v60
	v_fma_f32 v3, -0.5, v6, v17
	v_mov_b32_e32 v6, v2
	v_add_f32_e32 v11, v62, v63
	v_sub_f32_e32 v16, v62, v63
	v_mov_b32_e32 v15, v13
	v_add_f32_e32 v17, v64, v65
	v_sub_f32_e32 v9, v58, v59
	v_add_f32_e32 v1, v4, v1
	v_add_f32_e32 v4, v7, v61
	v_fmac_f32_e32 v2, 0x3f5db3d7, v5
	v_mov_b32_e32 v7, v3
	v_fmac_f32_e32 v6, 0xbf5db3d7, v5
	v_add_f32_e32 v5, v19, v20
	v_fma_f32 v12, -0.5, v11, v44
	v_fmac_f32_e32 v15, 0x3f5db3d7, v16
	v_fmac_f32_e32 v13, 0xbf5db3d7, v16
	v_add_f32_e32 v16, v46, v64
	v_fma_f32 v46, -0.5, v17, v46
	v_sub_f32_e32 v10, v20, v21
	v_fmac_f32_e32 v3, 0xbf5db3d7, v9
	v_fmac_f32_e32 v7, 0x3f5db3d7, v9
	v_add_f32_e32 v5, v5, v21
	v_add_f32_e32 v9, v20, v21
	v_sub_f32_e32 v11, v22, v23
	v_mov_b32_e32 v14, v12
	v_sub_f32_e32 v17, v24, v25
	v_mov_b32_e32 v20, v46
	v_add_f32_e32 v21, v24, v25
	v_fmac_f32_e32 v14, 0xbf5db3d7, v11
	v_fmac_f32_e32 v12, 0x3f5db3d7, v11
	v_add_f32_e32 v11, v45, v22
	v_fmac_f32_e32 v20, 0xbf5db3d7, v17
	v_fmac_f32_e32 v46, 0x3f5db3d7, v17
	v_add_f32_e32 v17, v47, v24
	v_fmac_f32_e32 v47, -0.5, v21
	v_add_f32_e32 v8, v60, v61
	v_add_f32_e32 v11, v11, v23
	v_sub_f32_e32 v22, v64, v65
	v_mov_b32_e32 v21, v47
	v_mov_b32_e32 v23, 3
	v_fma_f32 v18, -0.5, v8, v18
	v_fmac_f32_e32 v21, 0x3f5db3d7, v22
	v_fmac_f32_e32 v47, 0xbf5db3d7, v22
	v_mul_u32_u24_e32 v22, 0x198, v50
	v_lshlrev_b32_sdwa v24, v23, v51 dst_sel:DWORD dst_unused:UNUSED_PAD src0_sel:DWORD src1_sel:BYTE_0
	v_mov_b32_e32 v8, v18
	v_fmac_f32_e32 v19, -0.5, v9
	v_add3_u32 v22, 0, v22, v24
	v_fmac_f32_e32 v8, 0xbf5db3d7, v10
	v_fmac_f32_e32 v18, 0x3f5db3d7, v10
	v_sub_f32_e32 v10, v60, v61
	v_mov_b32_e32 v9, v19
	ds_write2_b64 v22, v[0:1], v[6:7] offset1:17
	ds_write_b64 v22, v[2:3] offset:272
	v_mul_u32_u24_e32 v0, 0x198, v52
	v_lshlrev_b32_sdwa v1, v23, v53 dst_sel:DWORD dst_unused:UNUSED_PAD src0_sel:DWORD src1_sel:BYTE_0
	v_fmac_f32_e32 v9, 0x3f5db3d7, v10
	v_add3_u32 v0, 0, v0, v1
	v_fmac_f32_e32 v19, 0xbf5db3d7, v10
	v_add_f32_e32 v10, v44, v62
	ds_write2_b64 v0, v[4:5], v[8:9] offset1:17
	ds_write_b64 v0, v[18:19] offset:272
	v_mul_u32_u24_e32 v0, 0x198, v54
	v_lshlrev_b32_sdwa v1, v23, v55 dst_sel:DWORD dst_unused:UNUSED_PAD src0_sel:DWORD src1_sel:BYTE_0
	v_add_f32_e32 v10, v10, v63
	v_add3_u32 v0, 0, v0, v1
	ds_write2_b64 v0, v[10:11], v[14:15] offset1:17
	ds_write_b64 v0, v[12:13] offset:272
	v_mul_u32_u24_e32 v0, 0x198, v56
	v_lshlrev_b32_sdwa v1, v23, v57 dst_sel:DWORD dst_unused:UNUSED_PAD src0_sel:DWORD src1_sel:BYTE_0
	v_add_f32_e32 v16, v16, v65
	v_add_f32_e32 v17, v17, v25
	v_add3_u32 v0, 0, v0, v1
	ds_write2_b64 v0, v[16:17], v[20:21] offset1:17
	ds_write_b64 v0, v[46:47] offset:272
	v_mul_u32_u24_e32 v0, 5, v32
	v_lshlrev_b32_e32 v8, 3, v0
	s_waitcnt lgkmcnt(0)
	; wave barrier
	s_waitcnt lgkmcnt(0)
	global_load_dwordx4 v[0:3], v8, s[8:9] offset:272
	global_load_dwordx4 v[4:7], v8, s[8:9] offset:288
	global_load_dwordx2 v[40:41], v8, s[8:9] offset:304
	ds_read2_b64 v[8:11], v42 offset1:51
	ds_read2_b64 v[12:15], v42 offset0:102 offset1:153
	ds_read2_b64 v[16:19], v42 offset0:204 offset1:255
	;; [unrolled: 1-line block ×5, first 2 shown]
	s_waitcnt lgkmcnt(0)
	; wave barrier
	s_waitcnt vmcnt(2) lgkmcnt(0)
	v_mul_f32_e32 v44, v1, v13
	v_mul_f32_e32 v45, v1, v12
	v_fmac_f32_e32 v44, v0, v12
	v_fma_f32 v12, v0, v13, -v45
	v_mul_f32_e32 v13, v3, v17
	v_fmac_f32_e32 v13, v2, v16
	v_mul_f32_e32 v16, v3, v16
	v_fma_f32 v16, v2, v17, -v16
	s_waitcnt vmcnt(1)
	v_mul_f32_e32 v17, v5, v21
	v_fmac_f32_e32 v17, v4, v20
	v_mul_f32_e32 v20, v5, v20
	v_fma_f32 v20, v4, v21, -v20
	v_mul_f32_e32 v21, v7, v25
	v_fmac_f32_e32 v21, v6, v24
	v_mul_f32_e32 v24, v7, v24
	v_fma_f32 v24, v6, v25, -v24
	s_waitcnt vmcnt(0)
	v_mul_f32_e32 v25, v41, v29
	v_fmac_f32_e32 v25, v40, v28
	v_mul_f32_e32 v28, v41, v28
	v_fma_f32 v28, v40, v29, -v28
	v_mul_f32_e32 v29, v15, v1
	v_mul_f32_e32 v1, v14, v1
	v_fmac_f32_e32 v29, v14, v0
	v_fma_f32 v45, v15, v0, -v1
	v_mul_f32_e32 v0, v18, v3
	v_fma_f32 v15, v19, v2, -v0
	v_mul_f32_e32 v0, v22, v5
	v_mul_f32_e32 v14, v19, v3
	v_fma_f32 v19, v23, v4, -v0
	v_mul_f32_e32 v0, v26, v7
	v_fmac_f32_e32 v14, v18, v2
	v_mul_f32_e32 v18, v23, v5
	v_fma_f32 v23, v27, v6, -v0
	v_mul_f32_e32 v0, v30, v41
	v_fmac_f32_e32 v18, v22, v4
	v_mul_f32_e32 v22, v27, v7
	v_fma_f32 v27, v31, v40, -v0
	v_add_f32_e32 v0, v8, v13
	v_fmac_f32_e32 v22, v26, v6
	v_add_f32_e32 v6, v0, v21
	v_add_f32_e32 v0, v13, v21
	v_fma_f32 v7, -0.5, v0, v8
	v_sub_f32_e32 v0, v16, v24
	v_mov_b32_e32 v8, v7
	v_mul_f32_e32 v26, v31, v41
	v_fmac_f32_e32 v8, 0xbf5db3d7, v0
	v_fmac_f32_e32 v7, 0x3f5db3d7, v0
	v_add_f32_e32 v0, v9, v16
	v_fmac_f32_e32 v26, v30, v40
	v_add_f32_e32 v30, v0, v24
	v_add_f32_e32 v0, v16, v24
	v_fma_f32 v16, -0.5, v0, v9
	v_sub_f32_e32 v0, v13, v21
	v_mov_b32_e32 v9, v16
	v_fmac_f32_e32 v9, 0x3f5db3d7, v0
	v_fmac_f32_e32 v16, 0xbf5db3d7, v0
	v_add_f32_e32 v0, v44, v17
	v_add_f32_e32 v13, v0, v25
	;; [unrolled: 1-line block ×3, first 2 shown]
	v_fmac_f32_e32 v44, -0.5, v0
	v_sub_f32_e32 v0, v20, v28
	v_mov_b32_e32 v3, v44
	v_fmac_f32_e32 v3, 0xbf5db3d7, v0
	v_fmac_f32_e32 v44, 0x3f5db3d7, v0
	v_add_f32_e32 v0, v12, v20
	v_add_f32_e32 v21, v0, v28
	;; [unrolled: 1-line block ×3, first 2 shown]
	v_fmac_f32_e32 v12, -0.5, v0
	v_sub_f32_e32 v0, v17, v25
	v_mov_b32_e32 v5, v12
	v_fmac_f32_e32 v12, 0xbf5db3d7, v0
	v_mul_f32_e32 v25, -0.5, v12
	v_fmac_f32_e32 v5, 0x3f5db3d7, v0
	v_mul_f32_e32 v20, 0xbf5db3d7, v12
	v_fmac_f32_e32 v25, 0x3f5db3d7, v44
	v_add_f32_e32 v0, v6, v13
	v_mul_f32_e32 v17, 0xbf5db3d7, v5
	v_fmac_f32_e32 v20, -0.5, v44
	v_mul_f32_e32 v24, 0.5, v5
	v_add_f32_e32 v5, v16, v25
	v_sub_f32_e32 v6, v6, v13
	v_sub_f32_e32 v13, v16, v25
	v_add_f32_e32 v16, v10, v14
	v_add_f32_e32 v4, v7, v20
	v_sub_f32_e32 v12, v7, v20
	v_add_f32_e32 v20, v16, v22
	v_add_f32_e32 v16, v14, v22
	v_fma_f32 v10, -0.5, v16, v10
	v_add_f32_e32 v1, v30, v21
	v_sub_f32_e32 v7, v30, v21
	v_sub_f32_e32 v16, v15, v23
	v_mov_b32_e32 v21, v10
	v_fmac_f32_e32 v21, 0xbf5db3d7, v16
	v_fmac_f32_e32 v10, 0x3f5db3d7, v16
	v_add_f32_e32 v16, v11, v15
	v_add_f32_e32 v15, v15, v23
	v_fmac_f32_e32 v24, 0x3f5db3d7, v3
	v_fmac_f32_e32 v11, -0.5, v15
	v_fmac_f32_e32 v17, 0.5, v3
	v_add_f32_e32 v3, v9, v24
	v_sub_f32_e32 v9, v9, v24
	v_add_f32_e32 v24, v16, v23
	v_sub_f32_e32 v14, v14, v22
	v_mov_b32_e32 v23, v11
	v_fmac_f32_e32 v23, 0x3f5db3d7, v14
	v_fmac_f32_e32 v11, 0xbf5db3d7, v14
	v_add_f32_e32 v14, v29, v18
	v_add_f32_e32 v22, v14, v26
	;; [unrolled: 1-line block ×3, first 2 shown]
	v_fmac_f32_e32 v29, -0.5, v14
	v_add_f32_e32 v2, v8, v17
	v_sub_f32_e32 v8, v8, v17
	v_sub_f32_e32 v14, v19, v27
	v_mov_b32_e32 v17, v29
	v_fmac_f32_e32 v17, 0xbf5db3d7, v14
	v_fmac_f32_e32 v29, 0x3f5db3d7, v14
	v_add_f32_e32 v14, v45, v19
	v_add_f32_e32 v25, v14, v27
	;; [unrolled: 1-line block ×3, first 2 shown]
	v_fmac_f32_e32 v45, -0.5, v14
	v_sub_f32_e32 v14, v18, v26
	v_mov_b32_e32 v19, v45
	v_fmac_f32_e32 v19, 0x3f5db3d7, v14
	v_fmac_f32_e32 v45, 0xbf5db3d7, v14
	v_mul_f32_e32 v26, 0xbf5db3d7, v19
	v_mul_f32_e32 v27, 0xbf5db3d7, v45
	v_mul_f32_e32 v28, 0.5, v19
	v_mul_f32_e32 v30, -0.5, v45
	v_fmac_f32_e32 v26, 0.5, v17
	v_fmac_f32_e32 v27, -0.5, v29
	v_fmac_f32_e32 v28, 0x3f5db3d7, v17
	v_fmac_f32_e32 v30, 0x3f5db3d7, v29
	v_add_f32_e32 v14, v20, v22
	v_add_f32_e32 v16, v21, v26
	;; [unrolled: 1-line block ×6, first 2 shown]
	v_sub_f32_e32 v20, v20, v22
	v_sub_f32_e32 v22, v21, v26
	;; [unrolled: 1-line block ×6, first 2 shown]
	ds_write2_b64 v42, v[0:1], v[2:3] offset1:51
	ds_write2_b64 v42, v[4:5], v[6:7] offset0:102 offset1:153
	ds_write2_b64 v42, v[8:9], v[12:13] offset0:204 offset1:255
	;; [unrolled: 1-line block ×5, first 2 shown]
	v_mov_b32_e32 v2, s9
	v_add_co_u32_e32 v0, vcc, s8, v36
	v_addc_co_u32_e32 v1, vcc, v2, v37, vcc
	s_waitcnt lgkmcnt(0)
	; wave barrier
	s_waitcnt lgkmcnt(0)
	global_load_dwordx2 v[24:25], v[0:1], off offset:2312
	v_add_co_u32_e32 v0, vcc, s8, v38
	v_addc_co_u32_e32 v1, vcc, v2, v39, vcc
	global_load_dwordx2 v[26:27], v[0:1], off offset:2720
	global_load_dwordx2 v[28:29], v[0:1], off offset:3128
	;; [unrolled: 1-line block ×4, first 2 shown]
	v_add_co_u32_e32 v0, vcc, s4, v0
	v_addc_co_u32_e32 v1, vcc, 0, v1, vcc
	global_load_dwordx2 v[38:39], v[0:1], off offset:256
	ds_read2_b64 v[0:3], v42 offset1:51
	ds_read2_b64 v[4:7], v33 offset0:50 offset1:101
	ds_read2_b64 v[8:11], v42 offset0:102 offset1:153
	;; [unrolled: 1-line block ×5, first 2 shown]
	s_waitcnt lgkmcnt(0)
	; wave barrier
	s_waitcnt vmcnt(5) lgkmcnt(0)
	v_mul_f32_e32 v40, v25, v5
	v_fmac_f32_e32 v40, v24, v4
	v_mul_f32_e32 v4, v25, v4
	v_fma_f32 v5, v24, v5, -v4
	s_waitcnt vmcnt(4)
	v_mul_f32_e32 v4, v27, v6
	v_mul_f32_e32 v24, v27, v7
	v_fma_f32 v7, v26, v7, -v4
	s_waitcnt vmcnt(3)
	v_mul_f32_e32 v4, v29, v12
	v_mul_f32_e32 v25, v29, v13
	v_fma_f32 v13, v28, v13, -v4
	s_waitcnt vmcnt(2)
	v_mul_f32_e32 v4, v31, v14
	v_fmac_f32_e32 v24, v26, v6
	v_mul_f32_e32 v26, v31, v15
	v_fma_f32 v15, v30, v15, -v4
	s_waitcnt vmcnt(1)
	v_mul_f32_e32 v4, v37, v20
	v_fmac_f32_e32 v25, v28, v12
	v_mul_f32_e32 v27, v37, v21
	v_fma_f32 v21, v36, v21, -v4
	s_waitcnt vmcnt(0)
	v_mul_f32_e32 v28, v23, v39
	v_mul_f32_e32 v4, v22, v39
	v_fmac_f32_e32 v26, v30, v14
	v_fmac_f32_e32 v27, v36, v20
	;; [unrolled: 1-line block ×3, first 2 shown]
	v_fma_f32 v23, v23, v38, -v4
	v_sub_f32_e32 v4, v0, v40
	v_sub_f32_e32 v5, v1, v5
	;; [unrolled: 1-line block ×4, first 2 shown]
	v_fma_f32 v0, v0, 2.0, -v4
	v_fma_f32 v1, v1, 2.0, -v5
	;; [unrolled: 1-line block ×4, first 2 shown]
	v_sub_f32_e32 v12, v8, v25
	v_sub_f32_e32 v13, v9, v13
	;; [unrolled: 1-line block ×8, first 2 shown]
	v_fma_f32 v8, v8, 2.0, -v12
	v_fma_f32 v9, v9, 2.0, -v13
	;; [unrolled: 1-line block ×8, first 2 shown]
	ds_write2_b64 v42, v[0:1], v[2:3] offset1:51
	ds_write2_b64 v33, v[4:5], v[6:7] offset0:50 offset1:101
	ds_write2_b64 v42, v[8:9], v[10:11] offset0:102 offset1:153
	;; [unrolled: 1-line block ×5, first 2 shown]
	s_waitcnt lgkmcnt(0)
	; wave barrier
	s_waitcnt lgkmcnt(0)
	s_and_saveexec_b64 s[4:5], s[0:1]
	s_cbranch_execz .LBB0_21
; %bb.20:
	v_lshl_add_u32 v6, v32, 3, 0
	v_mov_b32_e32 v33, 0
	ds_read2_b64 v[0:3], v6 offset1:51
	v_mov_b32_e32 v4, s3
	v_add_co_u32_e32 v7, vcc, s2, v34
	v_addc_co_u32_e32 v8, vcc, v4, v35, vcc
	v_lshlrev_b64 v[4:5], 3, v[32:33]
	v_add_u32_e32 v9, 0x800, v6
	v_add_co_u32_e32 v4, vcc, v7, v4
	v_addc_co_u32_e32 v5, vcc, v8, v5, vcc
	s_waitcnt lgkmcnt(0)
	global_store_dwordx2 v[4:5], v[0:1], off
	v_add_u32_e32 v0, 51, v32
	v_mov_b32_e32 v1, v33
	v_lshlrev_b64 v[0:1], 3, v[0:1]
	v_add_u32_e32 v4, 0x66, v32
	v_add_co_u32_e32 v0, vcc, v7, v0
	v_addc_co_u32_e32 v1, vcc, v8, v1, vcc
	global_store_dwordx2 v[0:1], v[2:3], off
	v_mov_b32_e32 v5, v33
	ds_read2_b64 v[0:3], v6 offset0:102 offset1:153
	v_lshlrev_b64 v[4:5], 3, v[4:5]
	v_add_co_u32_e32 v4, vcc, v7, v4
	v_addc_co_u32_e32 v5, vcc, v8, v5, vcc
	s_waitcnt lgkmcnt(0)
	global_store_dwordx2 v[4:5], v[0:1], off
	v_add_u32_e32 v0, 0x99, v32
	v_mov_b32_e32 v1, v33
	v_lshlrev_b64 v[0:1], 3, v[0:1]
	v_add_u32_e32 v4, 0xcc, v32
	v_add_co_u32_e32 v0, vcc, v7, v0
	v_addc_co_u32_e32 v1, vcc, v8, v1, vcc
	global_store_dwordx2 v[0:1], v[2:3], off
	v_mov_b32_e32 v5, v33
	ds_read2_b64 v[0:3], v6 offset0:204 offset1:255
	v_lshlrev_b64 v[4:5], 3, v[4:5]
	v_add_co_u32_e32 v4, vcc, v7, v4
	v_addc_co_u32_e32 v5, vcc, v8, v5, vcc
	s_waitcnt lgkmcnt(0)
	global_store_dwordx2 v[4:5], v[0:1], off
	v_add_u32_e32 v0, 0xff, v32
	v_mov_b32_e32 v1, v33
	v_lshlrev_b64 v[0:1], 3, v[0:1]
	v_add_u32_e32 v4, 0x132, v32
	v_add_co_u32_e32 v0, vcc, v7, v0
	v_addc_co_u32_e32 v1, vcc, v8, v1, vcc
	global_store_dwordx2 v[0:1], v[2:3], off
	v_mov_b32_e32 v5, v33
	ds_read2_b64 v[0:3], v9 offset0:50 offset1:101
	v_lshlrev_b64 v[4:5], 3, v[4:5]
	v_add_co_u32_e32 v4, vcc, v7, v4
	v_addc_co_u32_e32 v5, vcc, v8, v5, vcc
	s_waitcnt lgkmcnt(0)
	global_store_dwordx2 v[4:5], v[0:1], off
	v_add_u32_e32 v0, 0x165, v32
	v_mov_b32_e32 v1, v33
	v_lshlrev_b64 v[0:1], 3, v[0:1]
	v_add_u32_e32 v4, 0x198, v32
	v_add_co_u32_e32 v0, vcc, v7, v0
	v_addc_co_u32_e32 v1, vcc, v8, v1, vcc
	global_store_dwordx2 v[0:1], v[2:3], off
	v_mov_b32_e32 v5, v33
	ds_read2_b64 v[0:3], v9 offset0:152 offset1:203
	v_lshlrev_b64 v[4:5], 3, v[4:5]
	v_add_co_u32_e32 v4, vcc, v7, v4
	v_addc_co_u32_e32 v5, vcc, v8, v5, vcc
	s_waitcnt lgkmcnt(0)
	global_store_dwordx2 v[4:5], v[0:1], off
	v_add_u32_e32 v0, 0x1cb, v32
	v_mov_b32_e32 v1, v33
	v_lshlrev_b64 v[0:1], 3, v[0:1]
	v_add_u32_e32 v4, 0x1fe, v32
	v_add_co_u32_e32 v0, vcc, v7, v0
	v_addc_co_u32_e32 v1, vcc, v8, v1, vcc
	global_store_dwordx2 v[0:1], v[2:3], off
	v_add_u32_e32 v0, 0xc00, v6
	v_mov_b32_e32 v5, v33
	ds_read2_b64 v[0:3], v0 offset0:126 offset1:177
	v_lshlrev_b64 v[4:5], 3, v[4:5]
	v_add_u32_e32 v32, 0x231, v32
	v_add_co_u32_e32 v4, vcc, v7, v4
	v_addc_co_u32_e32 v5, vcc, v8, v5, vcc
	s_waitcnt lgkmcnt(0)
	global_store_dwordx2 v[4:5], v[0:1], off
	v_lshlrev_b64 v[0:1], 3, v[32:33]
	v_add_co_u32_e32 v0, vcc, v7, v0
	v_addc_co_u32_e32 v1, vcc, v8, v1, vcc
	global_store_dwordx2 v[0:1], v[2:3], off
.LBB0_21:
	s_endpgm
	.section	.rodata,"a",@progbits
	.p2align	6, 0x0
	.amdhsa_kernel fft_rtc_back_len612_factors_17_3_6_2_wgs_51_tpt_51_halfLds_sp_ip_CI_unitstride_sbrr_C2R_dirReg
		.amdhsa_group_segment_fixed_size 0
		.amdhsa_private_segment_fixed_size 0
		.amdhsa_kernarg_size 88
		.amdhsa_user_sgpr_count 6
		.amdhsa_user_sgpr_private_segment_buffer 1
		.amdhsa_user_sgpr_dispatch_ptr 0
		.amdhsa_user_sgpr_queue_ptr 0
		.amdhsa_user_sgpr_kernarg_segment_ptr 1
		.amdhsa_user_sgpr_dispatch_id 0
		.amdhsa_user_sgpr_flat_scratch_init 0
		.amdhsa_user_sgpr_private_segment_size 0
		.amdhsa_uses_dynamic_stack 0
		.amdhsa_system_sgpr_private_segment_wavefront_offset 0
		.amdhsa_system_sgpr_workgroup_id_x 1
		.amdhsa_system_sgpr_workgroup_id_y 0
		.amdhsa_system_sgpr_workgroup_id_z 0
		.amdhsa_system_sgpr_workgroup_info 0
		.amdhsa_system_vgpr_workitem_id 0
		.amdhsa_next_free_vgpr 178
		.amdhsa_next_free_sgpr 22
		.amdhsa_reserve_vcc 1
		.amdhsa_reserve_flat_scratch 0
		.amdhsa_float_round_mode_32 0
		.amdhsa_float_round_mode_16_64 0
		.amdhsa_float_denorm_mode_32 3
		.amdhsa_float_denorm_mode_16_64 3
		.amdhsa_dx10_clamp 1
		.amdhsa_ieee_mode 1
		.amdhsa_fp16_overflow 0
		.amdhsa_exception_fp_ieee_invalid_op 0
		.amdhsa_exception_fp_denorm_src 0
		.amdhsa_exception_fp_ieee_div_zero 0
		.amdhsa_exception_fp_ieee_overflow 0
		.amdhsa_exception_fp_ieee_underflow 0
		.amdhsa_exception_fp_ieee_inexact 0
		.amdhsa_exception_int_div_zero 0
	.end_amdhsa_kernel
	.text
.Lfunc_end0:
	.size	fft_rtc_back_len612_factors_17_3_6_2_wgs_51_tpt_51_halfLds_sp_ip_CI_unitstride_sbrr_C2R_dirReg, .Lfunc_end0-fft_rtc_back_len612_factors_17_3_6_2_wgs_51_tpt_51_halfLds_sp_ip_CI_unitstride_sbrr_C2R_dirReg
                                        ; -- End function
	.section	.AMDGPU.csdata,"",@progbits
; Kernel info:
; codeLenInByte = 10272
; NumSgprs: 26
; NumVgprs: 178
; ScratchSize: 0
; MemoryBound: 0
; FloatMode: 240
; IeeeMode: 1
; LDSByteSize: 0 bytes/workgroup (compile time only)
; SGPRBlocks: 3
; VGPRBlocks: 44
; NumSGPRsForWavesPerEU: 26
; NumVGPRsForWavesPerEU: 178
; Occupancy: 1
; WaveLimiterHint : 1
; COMPUTE_PGM_RSRC2:SCRATCH_EN: 0
; COMPUTE_PGM_RSRC2:USER_SGPR: 6
; COMPUTE_PGM_RSRC2:TRAP_HANDLER: 0
; COMPUTE_PGM_RSRC2:TGID_X_EN: 1
; COMPUTE_PGM_RSRC2:TGID_Y_EN: 0
; COMPUTE_PGM_RSRC2:TGID_Z_EN: 0
; COMPUTE_PGM_RSRC2:TIDIG_COMP_CNT: 0
	.type	__hip_cuid_5219360491215aae,@object ; @__hip_cuid_5219360491215aae
	.section	.bss,"aw",@nobits
	.globl	__hip_cuid_5219360491215aae
__hip_cuid_5219360491215aae:
	.byte	0                               ; 0x0
	.size	__hip_cuid_5219360491215aae, 1

	.ident	"AMD clang version 19.0.0git (https://github.com/RadeonOpenCompute/llvm-project roc-6.4.0 25133 c7fe45cf4b819c5991fe208aaa96edf142730f1d)"
	.section	".note.GNU-stack","",@progbits
	.addrsig
	.addrsig_sym __hip_cuid_5219360491215aae
	.amdgpu_metadata
---
amdhsa.kernels:
  - .args:
      - .actual_access:  read_only
        .address_space:  global
        .offset:         0
        .size:           8
        .value_kind:     global_buffer
      - .offset:         8
        .size:           8
        .value_kind:     by_value
      - .actual_access:  read_only
        .address_space:  global
        .offset:         16
        .size:           8
        .value_kind:     global_buffer
      - .actual_access:  read_only
        .address_space:  global
        .offset:         24
        .size:           8
        .value_kind:     global_buffer
      - .offset:         32
        .size:           8
        .value_kind:     by_value
      - .actual_access:  read_only
        .address_space:  global
        .offset:         40
        .size:           8
        .value_kind:     global_buffer
      - .actual_access:  read_only
        .address_space:  global
        .offset:         48
        .size:           8
        .value_kind:     global_buffer
      - .offset:         56
        .size:           4
        .value_kind:     by_value
      - .actual_access:  read_only
        .address_space:  global
        .offset:         64
        .size:           8
        .value_kind:     global_buffer
      - .actual_access:  read_only
        .address_space:  global
        .offset:         72
        .size:           8
        .value_kind:     global_buffer
      - .address_space:  global
        .offset:         80
        .size:           8
        .value_kind:     global_buffer
    .group_segment_fixed_size: 0
    .kernarg_segment_align: 8
    .kernarg_segment_size: 88
    .language:       OpenCL C
    .language_version:
      - 2
      - 0
    .max_flat_workgroup_size: 51
    .name:           fft_rtc_back_len612_factors_17_3_6_2_wgs_51_tpt_51_halfLds_sp_ip_CI_unitstride_sbrr_C2R_dirReg
    .private_segment_fixed_size: 0
    .sgpr_count:     26
    .sgpr_spill_count: 0
    .symbol:         fft_rtc_back_len612_factors_17_3_6_2_wgs_51_tpt_51_halfLds_sp_ip_CI_unitstride_sbrr_C2R_dirReg.kd
    .uniform_work_group_size: 1
    .uses_dynamic_stack: false
    .vgpr_count:     178
    .vgpr_spill_count: 0
    .wavefront_size: 64
amdhsa.target:   amdgcn-amd-amdhsa--gfx906
amdhsa.version:
  - 1
  - 2
...

	.end_amdgpu_metadata
